;; amdgpu-corpus repo=ROCm/rocFFT kind=compiled arch=gfx1030 opt=O3
	.text
	.amdgcn_target "amdgcn-amd-amdhsa--gfx1030"
	.amdhsa_code_object_version 6
	.protected	fft_rtc_back_len770_factors_11_10_7_wgs_220_tpt_110_sp_ip_CI_unitstride_sbrr_dirReg ; -- Begin function fft_rtc_back_len770_factors_11_10_7_wgs_220_tpt_110_sp_ip_CI_unitstride_sbrr_dirReg
	.globl	fft_rtc_back_len770_factors_11_10_7_wgs_220_tpt_110_sp_ip_CI_unitstride_sbrr_dirReg
	.p2align	8
	.type	fft_rtc_back_len770_factors_11_10_7_wgs_220_tpt_110_sp_ip_CI_unitstride_sbrr_dirReg,@function
fft_rtc_back_len770_factors_11_10_7_wgs_220_tpt_110_sp_ip_CI_unitstride_sbrr_dirReg: ; @fft_rtc_back_len770_factors_11_10_7_wgs_220_tpt_110_sp_ip_CI_unitstride_sbrr_dirReg
; %bb.0:
	s_clause 0x2
	s_load_dwordx4 s[8:11], s[4:5], 0x0
	s_load_dwordx2 s[2:3], s[4:5], 0x50
	s_load_dwordx2 s[12:13], s[4:5], 0x18
	v_mul_u32_u24_e32 v1, 0x254, v0
	v_mov_b32_e32 v3, 0
	v_lshrrev_b32_e32 v27, 16, v1
	v_mov_b32_e32 v1, 0
	v_mov_b32_e32 v6, v3
	v_mov_b32_e32 v2, 0
	v_lshl_add_u32 v5, s6, 1, v27
	s_waitcnt lgkmcnt(0)
	v_cmp_lt_u64_e64 s0, s[10:11], 2
	s_and_b32 vcc_lo, exec_lo, s0
	s_cbranch_vccnz .LBB0_8
; %bb.1:
	s_load_dwordx2 s[0:1], s[4:5], 0x10
	v_mov_b32_e32 v1, 0
	s_add_u32 s6, s12, 8
	v_mov_b32_e32 v2, 0
	s_addc_u32 s7, s13, 0
	s_mov_b64 s[16:17], 1
	s_waitcnt lgkmcnt(0)
	s_add_u32 s14, s0, 8
	s_addc_u32 s15, s1, 0
.LBB0_2:                                ; =>This Inner Loop Header: Depth=1
	s_load_dwordx2 s[18:19], s[14:15], 0x0
                                        ; implicit-def: $vgpr9_vgpr10
	s_mov_b32 s0, exec_lo
	s_waitcnt lgkmcnt(0)
	v_or_b32_e32 v4, s19, v6
	v_cmpx_ne_u64_e32 0, v[3:4]
	s_xor_b32 s1, exec_lo, s0
	s_cbranch_execz .LBB0_4
; %bb.3:                                ;   in Loop: Header=BB0_2 Depth=1
	v_cvt_f32_u32_e32 v4, s18
	v_cvt_f32_u32_e32 v7, s19
	s_sub_u32 s0, 0, s18
	s_subb_u32 s20, 0, s19
	v_fmac_f32_e32 v4, 0x4f800000, v7
	v_rcp_f32_e32 v4, v4
	v_mul_f32_e32 v4, 0x5f7ffffc, v4
	v_mul_f32_e32 v7, 0x2f800000, v4
	v_trunc_f32_e32 v7, v7
	v_fmac_f32_e32 v4, 0xcf800000, v7
	v_cvt_u32_f32_e32 v7, v7
	v_cvt_u32_f32_e32 v4, v4
	v_mul_lo_u32 v8, s0, v7
	v_mul_hi_u32 v9, s0, v4
	v_mul_lo_u32 v10, s20, v4
	v_add_nc_u32_e32 v8, v9, v8
	v_mul_lo_u32 v9, s0, v4
	v_add_nc_u32_e32 v8, v8, v10
	v_mul_hi_u32 v10, v4, v9
	v_mul_lo_u32 v11, v4, v8
	v_mul_hi_u32 v12, v4, v8
	v_mul_hi_u32 v13, v7, v9
	v_mul_lo_u32 v9, v7, v9
	v_mul_hi_u32 v14, v7, v8
	v_mul_lo_u32 v8, v7, v8
	v_add_co_u32 v10, vcc_lo, v10, v11
	v_add_co_ci_u32_e32 v11, vcc_lo, 0, v12, vcc_lo
	v_add_co_u32 v9, vcc_lo, v10, v9
	v_add_co_ci_u32_e32 v9, vcc_lo, v11, v13, vcc_lo
	v_add_co_ci_u32_e32 v10, vcc_lo, 0, v14, vcc_lo
	v_add_co_u32 v8, vcc_lo, v9, v8
	v_add_co_ci_u32_e32 v9, vcc_lo, 0, v10, vcc_lo
	v_add_co_u32 v4, vcc_lo, v4, v8
	v_add_co_ci_u32_e32 v7, vcc_lo, v7, v9, vcc_lo
	v_mul_hi_u32 v8, s0, v4
	v_mul_lo_u32 v10, s20, v4
	v_mul_lo_u32 v9, s0, v7
	v_add_nc_u32_e32 v8, v8, v9
	v_mul_lo_u32 v9, s0, v4
	v_add_nc_u32_e32 v8, v8, v10
	v_mul_hi_u32 v10, v4, v9
	v_mul_lo_u32 v11, v4, v8
	v_mul_hi_u32 v12, v4, v8
	v_mul_hi_u32 v13, v7, v9
	v_mul_lo_u32 v9, v7, v9
	v_mul_hi_u32 v14, v7, v8
	v_mul_lo_u32 v8, v7, v8
	v_add_co_u32 v10, vcc_lo, v10, v11
	v_add_co_ci_u32_e32 v11, vcc_lo, 0, v12, vcc_lo
	v_add_co_u32 v9, vcc_lo, v10, v9
	v_add_co_ci_u32_e32 v9, vcc_lo, v11, v13, vcc_lo
	v_add_co_ci_u32_e32 v10, vcc_lo, 0, v14, vcc_lo
	v_add_co_u32 v8, vcc_lo, v9, v8
	v_add_co_ci_u32_e32 v9, vcc_lo, 0, v10, vcc_lo
	v_add_co_u32 v4, vcc_lo, v4, v8
	v_add_co_ci_u32_e32 v11, vcc_lo, v7, v9, vcc_lo
	v_mul_hi_u32 v13, v5, v4
	v_mad_u64_u32 v[9:10], null, v6, v4, 0
	v_mad_u64_u32 v[7:8], null, v5, v11, 0
	;; [unrolled: 1-line block ×3, first 2 shown]
	v_add_co_u32 v4, vcc_lo, v13, v7
	v_add_co_ci_u32_e32 v7, vcc_lo, 0, v8, vcc_lo
	v_add_co_u32 v4, vcc_lo, v4, v9
	v_add_co_ci_u32_e32 v4, vcc_lo, v7, v10, vcc_lo
	v_add_co_ci_u32_e32 v7, vcc_lo, 0, v12, vcc_lo
	v_add_co_u32 v4, vcc_lo, v4, v11
	v_add_co_ci_u32_e32 v9, vcc_lo, 0, v7, vcc_lo
	v_mul_lo_u32 v10, s19, v4
	v_mad_u64_u32 v[7:8], null, s18, v4, 0
	v_mul_lo_u32 v11, s18, v9
	v_sub_co_u32 v7, vcc_lo, v5, v7
	v_add3_u32 v8, v8, v11, v10
	v_sub_nc_u32_e32 v10, v6, v8
	v_subrev_co_ci_u32_e64 v10, s0, s19, v10, vcc_lo
	v_add_co_u32 v11, s0, v4, 2
	v_add_co_ci_u32_e64 v12, s0, 0, v9, s0
	v_sub_co_u32 v13, s0, v7, s18
	v_sub_co_ci_u32_e32 v8, vcc_lo, v6, v8, vcc_lo
	v_subrev_co_ci_u32_e64 v10, s0, 0, v10, s0
	v_cmp_le_u32_e32 vcc_lo, s18, v13
	v_cmp_eq_u32_e64 s0, s19, v8
	v_cndmask_b32_e64 v13, 0, -1, vcc_lo
	v_cmp_le_u32_e32 vcc_lo, s19, v10
	v_cndmask_b32_e64 v14, 0, -1, vcc_lo
	v_cmp_le_u32_e32 vcc_lo, s18, v7
	;; [unrolled: 2-line block ×3, first 2 shown]
	v_cndmask_b32_e64 v15, 0, -1, vcc_lo
	v_cmp_eq_u32_e32 vcc_lo, s19, v10
	v_cndmask_b32_e64 v7, v15, v7, s0
	v_cndmask_b32_e32 v10, v14, v13, vcc_lo
	v_add_co_u32 v13, vcc_lo, v4, 1
	v_add_co_ci_u32_e32 v14, vcc_lo, 0, v9, vcc_lo
	v_cmp_ne_u32_e32 vcc_lo, 0, v10
	v_cndmask_b32_e32 v8, v14, v12, vcc_lo
	v_cndmask_b32_e32 v11, v13, v11, vcc_lo
	v_cmp_ne_u32_e32 vcc_lo, 0, v7
	v_cndmask_b32_e32 v10, v9, v8, vcc_lo
	v_cndmask_b32_e32 v9, v4, v11, vcc_lo
.LBB0_4:                                ;   in Loop: Header=BB0_2 Depth=1
	s_andn2_saveexec_b32 s0, s1
	s_cbranch_execz .LBB0_6
; %bb.5:                                ;   in Loop: Header=BB0_2 Depth=1
	v_cvt_f32_u32_e32 v4, s18
	s_sub_i32 s1, 0, s18
	v_mov_b32_e32 v10, v3
	v_rcp_iflag_f32_e32 v4, v4
	v_mul_f32_e32 v4, 0x4f7ffffe, v4
	v_cvt_u32_f32_e32 v4, v4
	v_mul_lo_u32 v7, s1, v4
	v_mul_hi_u32 v7, v4, v7
	v_add_nc_u32_e32 v4, v4, v7
	v_mul_hi_u32 v4, v5, v4
	v_mul_lo_u32 v7, v4, s18
	v_add_nc_u32_e32 v8, 1, v4
	v_sub_nc_u32_e32 v7, v5, v7
	v_subrev_nc_u32_e32 v9, s18, v7
	v_cmp_le_u32_e32 vcc_lo, s18, v7
	v_cndmask_b32_e32 v7, v7, v9, vcc_lo
	v_cndmask_b32_e32 v4, v4, v8, vcc_lo
	v_cmp_le_u32_e32 vcc_lo, s18, v7
	v_add_nc_u32_e32 v8, 1, v4
	v_cndmask_b32_e32 v9, v4, v8, vcc_lo
.LBB0_6:                                ;   in Loop: Header=BB0_2 Depth=1
	s_or_b32 exec_lo, exec_lo, s0
	s_load_dwordx2 s[0:1], s[6:7], 0x0
	v_mul_lo_u32 v4, v10, s18
	v_mul_lo_u32 v11, v9, s19
	v_mad_u64_u32 v[7:8], null, v9, s18, 0
	s_add_u32 s16, s16, 1
	s_addc_u32 s17, s17, 0
	s_add_u32 s6, s6, 8
	s_addc_u32 s7, s7, 0
	;; [unrolled: 2-line block ×3, first 2 shown]
	v_add3_u32 v4, v8, v11, v4
	v_sub_co_u32 v5, vcc_lo, v5, v7
	v_sub_co_ci_u32_e32 v4, vcc_lo, v6, v4, vcc_lo
	s_waitcnt lgkmcnt(0)
	v_mul_lo_u32 v6, s1, v5
	v_mul_lo_u32 v4, s0, v4
	v_mad_u64_u32 v[1:2], null, s0, v5, v[1:2]
	v_cmp_ge_u64_e64 s0, s[16:17], s[10:11]
	s_and_b32 vcc_lo, exec_lo, s0
	v_add3_u32 v2, v6, v2, v4
	s_cbranch_vccnz .LBB0_9
; %bb.7:                                ;   in Loop: Header=BB0_2 Depth=1
	v_mov_b32_e32 v5, v9
	v_mov_b32_e32 v6, v10
	s_branch .LBB0_2
.LBB0_8:
	v_mov_b32_e32 v10, v6
	v_mov_b32_e32 v9, v5
.LBB0_9:
	s_lshl_b64 s[0:1], s[10:11], 3
	v_mul_hi_u32 v3, 0x253c826, v0
	s_add_u32 s0, s12, s0
	s_addc_u32 s1, s13, s1
	v_mov_b32_e32 v8, 0
	s_load_dwordx2 s[0:1], s[0:1], 0x0
	s_load_dwordx2 s[4:5], s[4:5], 0x20
	v_mov_b32_e32 v4, 0
	v_mov_b32_e32 v7, 0
                                        ; implicit-def: $vgpr26
                                        ; implicit-def: $vgpr22
                                        ; implicit-def: $vgpr18
                                        ; implicit-def: $vgpr14
                                        ; implicit-def: $vgpr24
                                        ; implicit-def: $vgpr20
                                        ; implicit-def: $vgpr16
                                        ; implicit-def: $vgpr12
	v_mul_u32_u24_e32 v3, 0x6e, v3
	v_sub_nc_u32_e32 v3, v0, v3
	s_waitcnt lgkmcnt(0)
	v_mul_lo_u32 v5, s0, v10
	v_mul_lo_u32 v6, s1, v9
	v_mad_u64_u32 v[1:2], null, s0, v9, v[1:2]
	v_cmp_gt_u64_e32 vcc_lo, s[4:5], v[9:10]
                                        ; implicit-def: $vgpr10
	v_add3_u32 v2, v6, v2, v5
                                        ; implicit-def: $vgpr6
	s_and_saveexec_b32 s1, vcc_lo
	s_cbranch_execz .LBB0_13
; %bb.10:
	v_mov_b32_e32 v7, 0
	v_mov_b32_e32 v8, 0
	s_mov_b32 s4, exec_lo
                                        ; implicit-def: $vgpr11
                                        ; implicit-def: $vgpr15
                                        ; implicit-def: $vgpr19
                                        ; implicit-def: $vgpr23
                                        ; implicit-def: $vgpr5
                                        ; implicit-def: $vgpr9
                                        ; implicit-def: $vgpr13
                                        ; implicit-def: $vgpr17
                                        ; implicit-def: $vgpr21
                                        ; implicit-def: $vgpr25
	v_cmpx_gt_u32_e32 0x46, v3
	s_cbranch_execz .LBB0_12
; %bb.11:
	v_mov_b32_e32 v4, 0
	v_lshlrev_b64 v[5:6], 3, v[1:2]
	v_lshlrev_b64 v[7:8], 3, v[3:4]
	v_add_co_u32 v0, s0, s2, v5
	v_add_co_ci_u32_e64 v5, s0, s3, v6, s0
	v_add_co_u32 v4, s0, v0, v7
	v_add_co_ci_u32_e64 v5, s0, v5, v8, s0
	s_clause 0x3
	global_load_dwordx2 v[7:8], v[4:5], off
	global_load_dwordx2 v[25:26], v[4:5], off offset:560
	global_load_dwordx2 v[21:22], v[4:5], off offset:1120
	;; [unrolled: 1-line block ×3, first 2 shown]
	v_add_co_u32 v15, s0, 0x800, v4
	v_add_co_ci_u32_e64 v16, s0, 0, v5, s0
	v_add_co_u32 v4, s0, 0x1000, v4
	v_add_co_ci_u32_e64 v5, s0, 0, v5, s0
	s_clause 0x6
	global_load_dwordx2 v[13:14], v[15:16], off offset:192
	global_load_dwordx2 v[9:10], v[15:16], off offset:752
	;; [unrolled: 1-line block ×7, first 2 shown]
.LBB0_12:
	s_or_b32 exec_lo, exec_lo, s4
	v_mov_b32_e32 v4, v3
.LBB0_13:
	s_or_b32 exec_lo, exec_lo, s1
	s_waitcnt vmcnt(9)
	v_add_f32_e32 v0, v7, v25
	v_add_f32_e32 v28, v8, v26
	s_waitcnt vmcnt(0)
	v_sub_f32_e32 v29, v26, v6
	v_add_f32_e32 v31, v25, v5
	v_sub_f32_e32 v25, v25, v5
	v_add_f32_e32 v0, v0, v21
	v_add_f32_e32 v30, v28, v22
	;; [unrolled: 1-line block ×3, first 2 shown]
	v_mul_f32_e32 v32, 0xbf68dda4, v29
	v_mul_f32_e32 v33, 0xbf68dda4, v25
	v_add_f32_e32 v0, v0, v17
	v_add_f32_e32 v26, v30, v18
	v_mul_f32_e32 v34, 0xbf7d64f0, v29
	v_fmamk_f32 v38, v31, 0x3ed4b147, v32
	v_fma_f32 v32, 0x3ed4b147, v31, -v32
	v_add_f32_e32 v0, v0, v13
	v_add_f32_e32 v26, v26, v14
	v_fma_f32 v39, 0x3ed4b147, v28, -v33
	v_fmac_f32_e32 v33, 0x3ed4b147, v28
	v_add_f32_e32 v41, v7, v32
	v_add_f32_e32 v0, v0, v9
	;; [unrolled: 1-line block ×3, first 2 shown]
	v_fma_f32 v32, 0xbe11bafb, v31, -v34
	v_and_b32_e32 v27, 1, v27
	v_add_f32_e32 v42, v8, v33
	v_add_f32_e32 v0, v0, v11
	;; [unrolled: 1-line block ×4, first 2 shown]
	v_mul_f32_e32 v32, 0xbf4178ce, v25
	v_cmp_eq_u32_e64 s0, 1, v27
	v_add_f32_e32 v0, v15, v0
	v_mul_f32_e32 v27, 0x3f575c64, v31
	v_add_f32_e32 v26, v16, v26
	v_fmamk_f32 v40, v31, 0xbe11bafb, v34
	v_fma_f32 v34, 0xbf27a4f4, v28, -v32
	v_add_f32_e32 v0, v19, v0
	v_add_f32_e32 v50, v21, v23
	v_mul_f32_e32 v30, 0xbf0a6770, v25
	v_fmamk_f32 v36, v29, 0xbf0a6770, v27
	v_add_f32_e32 v26, v20, v26
	v_add_f32_e32 v0, v23, v0
	v_fmac_f32_e32 v32, 0xbf27a4f4, v28
	v_add_f32_e32 v48, v8, v34
	v_sub_f32_e32 v21, v21, v23
	v_sub_f32_e32 v34, v22, v24
	v_add_f32_e32 v5, v5, v0
	v_mul_f32_e32 v0, 0xbf4178ce, v29
	v_fma_f32 v37, 0x3f575c64, v28, -v30
	v_add_f32_e32 v36, v7, v36
	v_add_f32_e32 v26, v24, v26
	;; [unrolled: 1-line block ×3, first 2 shown]
	v_fmamk_f32 v33, v31, 0xbf27a4f4, v0
	v_fma_f32 v0, 0xbf27a4f4, v31, -v0
	v_mul_f32_e32 v32, 0xbf68dda4, v21
	v_mul_f32_e32 v52, 0xbf4178ce, v21
	;; [unrolled: 1-line block ×3, first 2 shown]
	v_add_f32_e32 v44, v7, v33
	v_mul_f32_e32 v33, 0xbe903f40, v29
	v_add_f32_e32 v37, v8, v37
	v_add_f32_e32 v39, v8, v39
	;; [unrolled: 1-line block ×4, first 2 shown]
	v_fmamk_f32 v45, v31, 0xbf75a155, v33
	v_fma_f32 v23, 0xbf75a155, v31, -v33
	v_mul_f32_e32 v31, 0x3ed4b147, v50
	v_add_f32_e32 v33, v22, v24
	v_fma_f32 v26, 0xbe11bafb, v28, -v35
	v_fmac_f32_e32 v35, 0xbe11bafb, v28
	v_add_f32_e32 v22, v7, v23
	v_fmamk_f32 v24, v34, 0xbf68dda4, v31
	v_mul_f32_e32 v23, 0xbf4178ce, v34
	v_fma_f32 v51, 0x3ed4b147, v33, -v32
	v_add_f32_e32 v40, v7, v40
	v_add_f32_e32 v26, v8, v26
	;; [unrolled: 1-line block ×3, first 2 shown]
	v_fma_f32 v36, 0xbf27a4f4, v33, -v52
	v_fmamk_f32 v53, v50, 0xbf27a4f4, v23
	v_add_f32_e32 v51, v37, v51
	v_fma_f32 v23, 0xbf27a4f4, v50, -v23
	v_mul_f32_e32 v37, 0x3e903f40, v34
	v_fmac_f32_e32 v52, 0xbf27a4f4, v33
	v_add_f32_e32 v39, v39, v36
	v_mul_f32_e32 v36, 0x3e903f40, v21
	v_add_f32_e32 v35, v8, v35
	v_mul_f32_e32 v25, 0xbe903f40, v25
	v_add_f32_e32 v53, v38, v53
	v_add_f32_e32 v23, v41, v23
	v_fmamk_f32 v38, v50, 0xbf75a155, v37
	v_add_f32_e32 v41, v42, v52
	v_mul_f32_e32 v42, 0x3f7d64f0, v34
	v_fma_f32 v52, 0xbf75a155, v33, -v36
	v_fma_f32 v37, 0xbf75a155, v50, -v37
	v_fmac_f32_e32 v36, 0xbf75a155, v33
	v_fma_f32 v46, 0xbf75a155, v28, -v25
	v_add_f32_e32 v40, v40, v38
	v_fmamk_f32 v38, v50, 0xbe11bafb, v42
	v_add_f32_e32 v26, v26, v52
	v_add_f32_e32 v43, v43, v37
	v_mul_f32_e32 v37, 0x3f7d64f0, v21
	v_add_f32_e32 v52, v35, v36
	v_mul_f32_e32 v35, 0x3f0a6770, v34
	v_mul_f32_e32 v21, 0x3f0a6770, v21
	v_add_f32_e32 v45, v7, v45
	v_add_f32_e32 v46, v8, v46
	;; [unrolled: 1-line block ×3, first 2 shown]
	v_fma_f32 v38, 0xbe11bafb, v50, -v42
	v_fmamk_f32 v42, v50, 0x3f575c64, v35
	v_fma_f32 v54, 0x3f575c64, v33, -v21
	v_add_f32_e32 v0, v7, v0
	v_fma_f32 v36, 0xbe11bafb, v33, -v37
	v_fmac_f32_e32 v37, 0xbe11bafb, v33
	v_add_f32_e32 v42, v45, v42
	v_add_f32_e32 v45, v46, v54
	;; [unrolled: 1-line block ×4, first 2 shown]
	v_sub_f32_e32 v17, v17, v19
	v_fma_f32 v19, 0x3f575c64, v50, -v35
	v_sub_f32_e32 v38, v18, v20
	v_mul_f32_e32 v35, 0xbe11bafb, v46
	v_add_f32_e32 v48, v48, v36
	v_add_f32_e32 v49, v49, v37
	v_add_f32_e32 v37, v18, v20
	v_mul_f32_e32 v36, 0xbf7d64f0, v17
	v_fmamk_f32 v20, v38, 0xbf7d64f0, v35
	v_mul_f32_e32 v50, 0x3e903f40, v17
	v_fmac_f32_e32 v25, 0xbf75a155, v28
	v_add_f32_e32 v18, v22, v19
	v_mul_f32_e32 v19, 0x3e903f40, v38
	v_fma_f32 v22, 0xbe11bafb, v37, -v36
	v_add_f32_e32 v20, v24, v20
	v_fma_f32 v24, 0xbf75a155, v37, -v50
	v_add_f32_e32 v25, v8, v25
	v_fmac_f32_e32 v21, 0x3f575c64, v33
	v_fmamk_f32 v54, v46, 0xbf75a155, v19
	v_add_f32_e32 v22, v51, v22
	v_fma_f32 v19, 0xbf75a155, v46, -v19
	v_mul_f32_e32 v51, 0x3f68dda4, v38
	v_fmac_f32_e32 v50, 0xbf75a155, v37
	v_add_f32_e32 v24, v39, v24
	v_mul_f32_e32 v39, 0x3f68dda4, v17
	v_add_f32_e32 v21, v25, v21
	v_add_f32_e32 v25, v53, v54
	;; [unrolled: 1-line block ×3, first 2 shown]
	v_fmamk_f32 v23, v46, 0x3ed4b147, v51
	v_add_f32_e32 v50, v41, v50
	v_mul_f32_e32 v41, 0xbf0a6770, v38
	v_fma_f32 v53, 0x3ed4b147, v37, -v39
	v_fma_f32 v51, 0x3ed4b147, v46, -v51
	v_fmac_f32_e32 v39, 0x3ed4b147, v37
	v_add_f32_e32 v23, v40, v23
	v_fmamk_f32 v40, v46, 0x3f575c64, v41
	v_add_f32_e32 v26, v26, v53
	v_add_f32_e32 v43, v43, v51
	v_mul_f32_e32 v51, 0xbf0a6770, v17
	v_add_f32_e32 v52, v52, v39
	v_mul_f32_e32 v39, 0xbf4178ce, v38
	v_add_f32_e32 v44, v44, v40
	v_fma_f32 v41, 0x3f575c64, v46, -v41
	v_fma_f32 v40, 0x3f575c64, v37, -v51
	v_fmac_f32_e32 v51, 0x3f575c64, v37
	v_fmamk_f32 v53, v46, 0xbf27a4f4, v39
	v_mul_f32_e32 v17, 0xbf4178ce, v17
	v_add_f32_e32 v0, v0, v41
	v_add_f32_e32 v48, v48, v40
	v_add_f32_e32 v49, v49, v51
	v_add_f32_e32 v51, v42, v53
	v_add_f32_e32 v53, v13, v15
	v_sub_f32_e32 v13, v13, v15
	v_fma_f32 v15, 0xbf27a4f4, v46, -v39
	v_sub_f32_e32 v42, v14, v16
	v_add_f32_e32 v41, v14, v16
	v_mul_f32_e32 v39, 0xbf27a4f4, v53
	v_mul_f32_e32 v40, 0xbf4178ce, v13
	v_fma_f32 v54, 0xbf27a4f4, v37, -v17
	v_add_f32_e32 v14, v18, v15
	v_mul_f32_e32 v15, 0x3f7d64f0, v42
	v_fmamk_f32 v16, v42, 0xbf4178ce, v39
	v_fma_f32 v18, 0xbf27a4f4, v41, -v40
	v_mul_f32_e32 v46, 0x3f7d64f0, v13
	v_add_f32_e32 v45, v45, v54
	v_fmac_f32_e32 v17, 0xbf27a4f4, v37
	v_fmamk_f32 v54, v53, 0xbe11bafb, v15
	v_add_f32_e32 v16, v20, v16
	v_add_f32_e32 v18, v22, v18
	v_fma_f32 v20, 0xbe11bafb, v41, -v46
	v_fma_f32 v15, 0xbe11bafb, v53, -v15
	v_mul_f32_e32 v22, 0xbf0a6770, v42
	v_fmac_f32_e32 v46, 0xbe11bafb, v41
	v_add_f32_e32 v17, v21, v17
	v_add_f32_e32 v21, v25, v54
	;; [unrolled: 1-line block ×3, first 2 shown]
	v_fmamk_f32 v19, v53, 0x3f575c64, v22
	v_add_f32_e32 v25, v50, v46
	v_mul_f32_e32 v46, 0xbe903f40, v42
	v_add_f32_e32 v20, v24, v20
	v_mul_f32_e32 v24, 0xbf0a6770, v13
	v_fma_f32 v22, 0x3f575c64, v53, -v22
	v_add_f32_e32 v19, v23, v19
	v_fmamk_f32 v23, v53, 0xbf75a155, v46
	v_fma_f32 v46, 0xbf75a155, v53, -v46
	v_fma_f32 v50, 0x3f575c64, v41, -v24
	v_fmac_f32_e32 v24, 0x3f575c64, v41
	v_add_f32_e32 v22, v43, v22
	v_mul_f32_e32 v43, 0xbe903f40, v13
	v_add_f32_e32 v23, v44, v23
	v_mul_f32_e32 v44, 0x3f68dda4, v42
	v_add_f32_e32 v26, v26, v50
	v_add_f32_e32 v24, v52, v24
	v_mul_f32_e32 v13, 0x3f68dda4, v13
	v_fma_f32 v50, 0xbf75a155, v41, -v43
	v_fmamk_f32 v52, v53, 0x3ed4b147, v44
	v_fmac_f32_e32 v43, 0xbf75a155, v41
	v_add_f32_e32 v0, v0, v46
	v_fma_f32 v54, 0x3ed4b147, v41, -v13
	v_add_f32_e32 v48, v48, v50
	v_add_f32_e32 v50, v51, v52
	;; [unrolled: 1-line block ×5, first 2 shown]
	v_sub_f32_e32 v54, v9, v11
	v_fma_f32 v9, 0x3ed4b147, v53, -v44
	v_sub_f32_e32 v45, v10, v12
	v_mul_f32_e32 v43, 0xbf75a155, v52
	v_add_f32_e32 v46, v10, v12
	v_mul_f32_e32 v44, 0xbe903f40, v54
	v_fmac_f32_e32 v13, 0x3ed4b147, v41
	v_add_f32_e32 v53, v14, v9
	v_fmamk_f32 v9, v45, 0xbe903f40, v43
	v_mul_f32_e32 v10, 0x3f0a6770, v45
	v_fma_f32 v12, 0xbf75a155, v46, -v44
	v_add_f32_e32 v55, v17, v13
	v_mul_f32_e32 v17, 0x3f0a6770, v54
	v_add_f32_e32 v11, v16, v9
	v_mul_f32_e32 v16, 0xbf4178ce, v45
	v_fmamk_f32 v13, v52, 0x3f575c64, v10
	v_add_f32_e32 v12, v18, v12
	v_fma_f32 v9, 0x3f575c64, v46, -v17
	v_fma_f32 v10, 0x3f575c64, v52, -v10
	v_fmamk_f32 v18, v52, 0xbf27a4f4, v16
	v_add_f32_e32 v13, v21, v13
	v_fmac_f32_e32 v17, 0x3f575c64, v46
	v_mul_f32_e32 v21, 0xbf4178ce, v54
	v_add_f32_e32 v14, v20, v9
	v_add_f32_e32 v9, v15, v10
	;; [unrolled: 1-line block ×3, first 2 shown]
	v_mul_f32_e32 v19, 0x3f68dda4, v45
	v_add_f32_e32 v10, v25, v17
	v_fma_f32 v17, 0xbf27a4f4, v46, -v21
	v_fma_f32 v18, 0xbf27a4f4, v52, -v16
	v_fmac_f32_e32 v21, 0xbf27a4f4, v46
	v_fmamk_f32 v25, v52, 0x3ed4b147, v19
	v_mul_f32_e32 v20, 0x3f68dda4, v54
	v_add_f32_e32 v16, v26, v17
	v_add_f32_e32 v17, v22, v18
	;; [unrolled: 1-line block ×3, first 2 shown]
	v_fma_f32 v19, 0x3ed4b147, v52, -v19
	v_add_f32_e32 v21, v23, v25
	v_mul_f32_e32 v23, 0xbf7d64f0, v45
	v_mul_f32_e32 v26, 0xbf7d64f0, v54
	v_cndmask_b32_e64 v47, 0, 0x302, s0
	v_fma_f32 v22, 0x3ed4b147, v46, -v20
	v_add_f32_e32 v19, v0, v19
	v_fmac_f32_e32 v20, 0x3ed4b147, v46
	v_fmamk_f32 v0, v52, 0xbe11bafb, v23
	v_fma_f32 v24, 0xbe11bafb, v46, -v26
	v_fma_f32 v25, 0xbe11bafb, v52, -v23
	v_fmac_f32_e32 v26, 0xbe11bafb, v46
	v_add_f32_e32 v22, v48, v22
	v_add_f32_e32 v20, v49, v20
	;; [unrolled: 1-line block ×6, first 2 shown]
	v_lshlrev_b32_e32 v0, 3, v47
	s_mov_b32 s1, exec_lo
	v_cmpx_gt_u32_e32 0x46, v3
	s_cbranch_execz .LBB0_15
; %bb.14:
	v_mul_f32_e32 v28, 0x3f575c64, v28
	v_mul_f32_e32 v29, 0xbf0a6770, v29
	;; [unrolled: 1-line block ×5, first 2 shown]
	v_add_f32_e32 v28, v28, v30
	v_sub_f32_e32 v27, v27, v29
	v_mul_f32_e32 v30, 0xbe11bafb, v37
	v_add_f32_e32 v32, v33, v32
	v_mul_f32_e32 v29, 0xbf4178ce, v42
	v_add_f32_e32 v8, v8, v28
	v_sub_f32_e32 v28, v31, v34
	v_add_f32_e32 v7, v7, v27
	v_mul_f32_e32 v27, 0xbf27a4f4, v41
	v_add_f32_e32 v30, v30, v36
	v_add_f32_e32 v8, v8, v32
	v_sub_f32_e32 v31, v35, v38
	v_add_f32_e32 v7, v7, v28
	v_mul_f32_e32 v28, 0xbf75a155, v46
	v_add_f32_e32 v27, v27, v40
	v_add_f32_e32 v8, v8, v30
	v_sub_f32_e32 v29, v39, v29
	v_add_f32_e32 v7, v7, v31
	v_mul_f32_e32 v30, 0xbe903f40, v45
	v_mul_u32_u24_e32 v31, 0x58, v3
	v_add_f32_e32 v8, v8, v27
	v_add_f32_e32 v27, v28, v44
	;; [unrolled: 1-line block ×3, first 2 shown]
	v_sub_f32_e32 v28, v43, v30
	v_add3_u32 v29, 0, v31, v0
	v_add_f32_e32 v8, v8, v27
	v_add_f32_e32 v7, v7, v28
	ds_write2_b64 v29, v[5:6], v[11:12] offset1:1
	ds_write2_b64 v29, v[13:14], v[15:16] offset0:2 offset1:3
	ds_write2_b64 v29, v[21:22], v[23:24] offset0:4 offset1:5
	;; [unrolled: 1-line block ×4, first 2 shown]
	ds_write_b64 v29, v[7:8] offset:80
.LBB0_15:
	s_or_b32 exec_lo, exec_lo, s1
	v_cmp_gt_u32_e64 s0, 0x4d, v3
	v_lshlrev_b32_e32 v7, 3, v3
	s_waitcnt lgkmcnt(0)
	s_barrier
	buffer_gl0_inv
	s_and_saveexec_b32 s1, s0
	s_cbranch_execz .LBB0_17
; %bb.16:
	v_add3_u32 v8, 0, v7, v0
	v_add_nc_u32_e32 v5, 0x1000, v8
	v_add_nc_u32_e32 v6, 0x800, v8
	ds_read2_b64 v[11:14], v8 offset0:77 offset1:154
	ds_read2_b64 v[15:18], v5 offset0:27 offset1:104
	v_add_nc_u32_e32 v5, 0x400, v8
	ds_read2_b64 v[21:24], v6 offset0:129 offset1:206
	ds_read2_b64 v[27:30], v5 offset0:103 offset1:180
	v_add3_u32 v5, 0, v0, v7
	ds_read_b64 v[5:6], v5
	ds_read_b64 v[9:10], v8 offset:5544
	s_waitcnt lgkmcnt(4)
	v_mov_b32_e32 v20, v16
	v_mov_b32_e32 v19, v15
	s_waitcnt lgkmcnt(3)
	v_mov_b32_e32 v26, v24
	v_mov_b32_e32 v25, v23
	;; [unrolled: 1-line block ×4, first 2 shown]
	s_waitcnt lgkmcnt(2)
	v_mov_b32_e32 v22, v30
	v_mov_b32_e32 v21, v29
	;; [unrolled: 1-line block ×4, first 2 shown]
.LBB0_17:
	s_or_b32 exec_lo, exec_lo, s1
	s_waitcnt lgkmcnt(0)
	s_barrier
	buffer_gl0_inv
	s_and_saveexec_b32 s1, s0
	s_cbranch_execz .LBB0_19
; %bb.18:
	v_and_b32_e32 v8, 0xff, v3
	v_mov_b32_e32 v28, 9
	v_mov_b32_e32 v46, 3
	v_mul_lo_u16 v8, 0x75, v8
	v_lshrrev_b16 v8, 8, v8
	v_sub_nc_u16 v27, v3, v8
	v_lshrrev_b16 v27, 1, v27
	v_and_b32_e32 v27, 0x7f, v27
	v_add_nc_u16 v8, v27, v8
	v_lshrrev_b16 v8, 3, v8
	v_mul_lo_u16 v27, v8, 11
	v_and_b32_e32 v8, 0xffff, v8
	v_sub_nc_u16 v45, v3, v27
	v_mad_u32_u24 v8, 0x370, v8, 0
	v_mul_u32_u24_sdwa v27, v45, v28 dst_sel:DWORD dst_unused:UNUSED_PAD src0_sel:BYTE_0 src1_sel:DWORD
	v_lshlrev_b32_sdwa v45, v46, v45 dst_sel:DWORD dst_unused:UNUSED_PAD src0_sel:DWORD src1_sel:BYTE_0
	v_lshlrev_b32_e32 v43, 3, v27
	v_add3_u32 v45, v8, v45, v0
	s_clause 0x4
	global_load_dwordx4 v[27:30], v43, s[8:9]
	global_load_dwordx4 v[31:34], v43, s[8:9] offset:16
	global_load_dwordx4 v[35:38], v43, s[8:9] offset:48
	;; [unrolled: 1-line block ×3, first 2 shown]
	global_load_dwordx2 v[43:44], v43, s[8:9] offset:64
	s_waitcnt vmcnt(4)
	v_mul_f32_e32 v8, v13, v30
	s_waitcnt vmcnt(3)
	v_mul_f32_e32 v46, v21, v34
	;; [unrolled: 2-line block ×4, first 2 shown]
	v_mul_f32_e32 v30, v14, v30
	v_mul_f32_e32 v49, v16, v32
	;; [unrolled: 1-line block ×3, first 2 shown]
	s_waitcnt vmcnt(0)
	v_mul_f32_e32 v51, v10, v44
	v_mul_f32_e32 v52, v20, v36
	;; [unrolled: 1-line block ×10, first 2 shown]
	v_fma_f32 v8, v14, v29, -v8
	v_fma_f32 v14, v22, v33, -v46
	;; [unrolled: 1-line block ×4, first 2 shown]
	v_fmac_f32_e32 v30, v13, v29
	v_fmac_f32_e32 v49, v15, v31
	;; [unrolled: 1-line block ×6, first 2 shown]
	v_fma_f32 v11, v24, v39, -v40
	v_fma_f32 v13, v20, v35, -v36
	;; [unrolled: 1-line block ×4, first 2 shown]
	v_mul_f32_e32 v42, v26, v42
	v_fmac_f32_e32 v38, v17, v37
	v_fmac_f32_e32 v34, v21, v33
	v_fma_f32 v12, v12, v27, -v28
	v_sub_f32_e32 v15, v8, v14
	v_sub_f32_e32 v16, v18, v22
	v_add_f32_e32 v17, v14, v22
	v_sub_f32_e32 v21, v49, v50
	v_sub_f32_e32 v23, v51, v52
	v_add_f32_e32 v24, v50, v52
	v_add_f32_e32 v29, v11, v13
	v_add_f32_e32 v44, v9, v10
	v_fmac_f32_e32 v42, v25, v41
	v_sub_f32_e32 v31, v49, v51
	v_add_f32_e32 v40, v49, v51
	v_add_f32_e32 v15, v15, v16
	v_fma_f32 v16, -0.5, v17, v6
	v_add_f32_e32 v17, v21, v23
	v_fma_f32 v21, -0.5, v24, v53
	v_fma_f32 v24, -0.5, v29, v12
	v_sub_f32_e32 v25, v9, v10
	v_sub_f32_e32 v27, v9, v11
	;; [unrolled: 1-line block ×4, first 2 shown]
	v_add_f32_e32 v36, v8, v18
	v_sub_f32_e32 v41, v11, v9
	v_add_f32_e32 v9, v12, v9
	v_fma_f32 v12, -0.5, v44, v12
	v_sub_f32_e32 v33, v14, v8
	v_sub_f32_e32 v35, v22, v18
	v_sub_f32_e32 v37, v50, v49
	v_sub_f32_e32 v39, v52, v51
	v_add_f32_e32 v54, v34, v42
	v_fma_f32 v29, -0.5, v40, v53
	v_fmamk_f32 v40, v31, 0xbf737871, v24
	v_fmac_f32_e32 v24, 0x3f737871, v31
	v_sub_f32_e32 v20, v34, v42
	v_sub_f32_e32 v26, v11, v13
	;; [unrolled: 1-line block ×3, first 2 shown]
	v_add_f32_e32 v58, v30, v38
	v_add_f32_e32 v23, v27, v28
	v_fma_f32 v28, -0.5, v36, v6
	v_fmamk_f32 v44, v32, 0x3f737871, v12
	v_fmac_f32_e32 v12, 0xbf737871, v32
	v_add_f32_e32 v46, v6, v8
	v_sub_f32_e32 v19, v30, v38
	v_sub_f32_e32 v47, v30, v34
	;; [unrolled: 1-line block ×4, first 2 shown]
	v_add_f32_e32 v30, v5, v30
	v_add_f32_e32 v49, v53, v49
	v_add_f32_e32 v27, v33, v35
	v_add_f32_e32 v6, v37, v39
	v_fma_f32 v35, -0.5, v54, v5
	v_fmamk_f32 v39, v25, 0x3f737871, v21
	v_fmac_f32_e32 v21, 0xbf737871, v25
	v_fmac_f32_e32 v24, 0x3f167918, v32
	v_sub_f32_e32 v48, v38, v42
	v_sub_f32_e32 v55, v14, v22
	v_add_f32_e32 v33, v41, v43
	v_fma_f32 v37, -0.5, v58, v5
	v_fmamk_f32 v41, v20, 0x3f737871, v28
	v_fmamk_f32 v43, v26, 0xbf737871, v29
	v_fmac_f32_e32 v28, 0xbf737871, v20
	v_fmac_f32_e32 v29, 0x3f737871, v26
	v_fmac_f32_e32 v44, 0xbf167918, v31
	v_fmac_f32_e32 v12, 0x3f167918, v31
	v_add_f32_e32 v14, v46, v14
	v_fmac_f32_e32 v40, 0xbf167918, v32
	v_add_f32_e32 v9, v9, v11
	v_add_f32_e32 v5, v30, v34
	;; [unrolled: 1-line block ×3, first 2 shown]
	v_fmamk_f32 v34, v19, 0xbf737871, v16
	v_fmac_f32_e32 v16, 0x3f737871, v19
	v_fmamk_f32 v46, v8, 0x3f737871, v35
	v_fmac_f32_e32 v35, 0xbf737871, v8
	v_fmac_f32_e32 v21, 0xbf167918, v26
	;; [unrolled: 1-line block ×3, first 2 shown]
	v_sub_f32_e32 v57, v42, v38
	v_add_f32_e32 v11, v47, v48
	v_fmamk_f32 v47, v55, 0xbf737871, v37
	v_fmac_f32_e32 v37, 0x3f737871, v55
	v_fmac_f32_e32 v41, 0xbf167918, v19
	;; [unrolled: 1-line block ×7, first 2 shown]
	v_add_f32_e32 v14, v14, v22
	v_fmac_f32_e32 v39, 0x3f167918, v26
	v_fmac_f32_e32 v40, 0x3e9e377a, v23
	v_add_f32_e32 v9, v9, v13
	v_add_f32_e32 v5, v5, v42
	;; [unrolled: 1-line block ×3, first 2 shown]
	v_fmac_f32_e32 v16, 0x3f167918, v20
	v_fmac_f32_e32 v35, 0xbf167918, v55
	;; [unrolled: 1-line block ×3, first 2 shown]
	v_mul_f32_e32 v25, 0x3f4f1bbd, v24
	v_mul_f32_e32 v30, 0xbf167918, v24
	v_add_f32_e32 v36, v56, v57
	v_fmac_f32_e32 v34, 0xbf167918, v20
	v_fmac_f32_e32 v47, 0x3f167918, v8
	;; [unrolled: 1-line block ×7, first 2 shown]
	v_mul_f32_e32 v20, 0xbe9e377a, v44
	v_mul_f32_e32 v22, 0x3e9e377a, v12
	;; [unrolled: 1-line block ×4, first 2 shown]
	v_add_f32_e32 v14, v14, v18
	v_fmac_f32_e32 v46, 0x3f167918, v55
	v_fmac_f32_e32 v39, 0x3e9e377a, v17
	v_mul_f32_e32 v18, 0xbf4f1bbd, v40
	v_mul_f32_e32 v26, 0xbf167918, v40
	v_add_f32_e32 v9, v9, v10
	v_add_f32_e32 v8, v5, v38
	;; [unrolled: 1-line block ×3, first 2 shown]
	v_fmac_f32_e32 v16, 0x3e9e377a, v15
	v_fmac_f32_e32 v35, 0x3e9e377a, v11
	;; [unrolled: 1-line block ×14, first 2 shown]
	v_sub_f32_e32 v6, v14, v9
	v_sub_f32_e32 v5, v8, v10
	v_add_f32_e32 v9, v14, v9
	v_add_f32_e32 v8, v8, v10
	v_sub_f32_e32 v17, v16, v25
	v_add_f32_e32 v25, v16, v25
	v_add_f32_e32 v24, v35, v30
	v_sub_f32_e32 v13, v41, v20
	v_sub_f32_e32 v15, v28, v22
	v_add_f32_e32 v21, v41, v20
	v_add_f32_e32 v23, v28, v22
	;; [unrolled: 1-line block ×4, first 2 shown]
	v_sub_f32_e32 v11, v34, v18
	v_add_f32_e32 v19, v34, v18
	v_add_f32_e32 v18, v46, v26
	v_sub_f32_e32 v14, v37, v12
	v_sub_f32_e32 v16, v35, v30
	v_sub_f32_e32 v10, v46, v26
	v_sub_f32_e32 v12, v47, v27
	ds_write2_b64 v45, v[8:9], v[24:25] offset1:11
	ds_write2_b64 v45, v[22:23], v[20:21] offset0:22 offset1:33
	ds_write2_b64 v45, v[18:19], v[5:6] offset0:44 offset1:55
	;; [unrolled: 1-line block ×4, first 2 shown]
.LBB0_19:
	s_or_b32 exec_lo, exec_lo, s1
	s_waitcnt lgkmcnt(0)
	s_barrier
	buffer_gl0_inv
	s_and_saveexec_b32 s0, vcc_lo
	s_cbranch_execz .LBB0_21
; %bb.20:
	v_mul_u32_u24_e32 v3, 6, v3
	v_mov_b32_e32 v5, 0
	v_lshlrev_b64 v[28:29], 3, v[1:2]
	v_lshlrev_b32_e32 v3, 3, v3
	v_lshlrev_b64 v[5:6], 3, v[4:5]
	s_clause 0x2
	global_load_dwordx4 v[8:11], v3, s[8:9] offset:792
	global_load_dwordx4 v[12:15], v3, s[8:9] offset:824
	;; [unrolled: 1-line block ×3, first 2 shown]
	v_add3_u32 v3, 0, v7, v0
	v_add_co_u32 v28, vcc_lo, s2, v28
	v_add_co_ci_u32_e32 v29, vcc_lo, s3, v29, vcc_lo
	v_add_nc_u32_e32 v24, 0x1000, v3
	v_add_nc_u32_e32 v25, 0x800, v3
	ds_read2_b64 v[20:23], v3 offset0:110 offset1:220
	v_add3_u32 v0, 0, v0, v7
	ds_read2_b64 v[1:4], v24 offset0:38 offset1:148
	ds_read2_b64 v[24:27], v25 offset0:74 offset1:184
	v_add_co_u32 v5, vcc_lo, v28, v5
	v_add_co_ci_u32_e32 v6, vcc_lo, v29, v6, vcc_lo
	ds_read_b64 v[28:29], v0
	v_add_co_u32 v30, vcc_lo, 0x800, v5
	v_add_co_ci_u32_e32 v31, vcc_lo, 0, v6, vcc_lo
	v_add_co_u32 v32, vcc_lo, 0x1000, v5
	v_add_co_ci_u32_e32 v33, vcc_lo, 0, v6, vcc_lo
	s_waitcnt vmcnt(2) lgkmcnt(3)
	v_mul_f32_e32 v0, v9, v21
	s_waitcnt vmcnt(1) lgkmcnt(2)
	v_mul_f32_e32 v7, v15, v4
	v_mul_f32_e32 v36, v11, v23
	;; [unrolled: 1-line block ×7, first 2 shown]
	s_waitcnt vmcnt(0) lgkmcnt(1)
	v_mul_f32_e32 v34, v19, v27
	v_mul_f32_e32 v35, v17, v25
	;; [unrolled: 1-line block ×4, first 2 shown]
	v_fmac_f32_e32 v0, v8, v20
	v_fmac_f32_e32 v7, v14, v3
	;; [unrolled: 1-line block ×4, first 2 shown]
	v_fma_f32 v1, v14, v4, -v15
	v_fma_f32 v3, v8, v21, -v9
	;; [unrolled: 1-line block ×4, first 2 shown]
	v_fmac_f32_e32 v34, v18, v26
	v_fmac_f32_e32 v35, v16, v24
	v_fma_f32 v4, v16, v25, -v17
	v_fma_f32 v8, v18, v27, -v19
	v_sub_f32_e32 v10, v0, v7
	v_add_f32_e32 v13, v3, v1
	v_add_f32_e32 v15, v9, v2
	;; [unrolled: 1-line block ×4, first 2 shown]
	v_sub_f32_e32 v11, v34, v35
	v_sub_f32_e32 v12, v36, v37
	v_add_f32_e32 v14, v8, v4
	v_add_f32_e32 v7, v34, v35
	v_sub_f32_e32 v1, v3, v1
	v_sub_f32_e32 v3, v8, v4
	;; [unrolled: 1-line block ×3, first 2 shown]
	v_add_f32_e32 v18, v13, v15
	v_add_f32_e32 v21, v0, v16
	v_sub_f32_e32 v4, v10, v11
	v_sub_f32_e32 v8, v11, v12
	v_add_f32_e32 v9, v11, v12
	v_sub_f32_e32 v11, v13, v14
	v_sub_f32_e32 v17, v14, v15
	;; [unrolled: 1-line block ×6, first 2 shown]
	v_add_f32_e32 v3, v3, v2
	v_sub_f32_e32 v12, v12, v10
	v_add_f32_e32 v14, v14, v18
	v_add_f32_e32 v7, v7, v21
	v_sub_f32_e32 v2, v2, v1
	v_sub_f32_e32 v13, v15, v13
	;; [unrolled: 1-line block ×3, first 2 shown]
	v_mul_f32_e32 v8, 0x3f08b237, v8
	v_mul_f32_e32 v16, 0x3d64c772, v17
	;; [unrolled: 1-line block ×4, first 2 shown]
	v_add_f32_e32 v3, v1, v3
	v_mul_f32_e32 v21, 0xbf5ff5aa, v12
	s_waitcnt lgkmcnt(0)
	v_add_f32_e32 v1, v14, v29
	v_add_f32_e32 v0, v7, v28
	;; [unrolled: 1-line block ×3, first 2 shown]
	v_mul_f32_e32 v10, 0x3f4a47b2, v11
	v_mul_f32_e32 v17, 0x3f4a47b2, v19
	v_mul_f32_e32 v23, 0xbf5ff5aa, v2
	v_fmamk_f32 v24, v4, 0xbeae86e6, v8
	v_fmamk_f32 v11, v11, 0x3f4a47b2, v16
	;; [unrolled: 1-line block ×4, first 2 shown]
	v_fma_f32 v4, 0x3eae86e6, v4, -v21
	v_fma_f32 v12, 0xbf5ff5aa, v12, -v8
	v_fmamk_f32 v14, v14, 0xbf955555, v1
	v_fmamk_f32 v7, v7, 0xbf955555, v0
	v_fma_f32 v10, 0xbf3bfb3b, v13, -v10
	v_fma_f32 v17, 0xbf3bfb3b, v15, -v17
	;; [unrolled: 1-line block ×6, first 2 shown]
	v_fmac_f32_e32 v24, 0xbee1c552, v9
	v_fmac_f32_e32 v25, 0xbee1c552, v3
	;; [unrolled: 1-line block ×4, first 2 shown]
	v_add_f32_e32 v9, v11, v14
	v_add_f32_e32 v11, v19, v7
	v_fmac_f32_e32 v21, 0xbee1c552, v3
	v_add_f32_e32 v15, v10, v14
	v_add_f32_e32 v16, v17, v7
	;; [unrolled: 1-line block ×3, first 2 shown]
	v_fmac_f32_e32 v2, 0xbee1c552, v3
	v_add_f32_e32 v7, v8, v7
	v_sub_f32_e32 v14, v9, v24
	v_add_f32_e32 v13, v25, v11
	global_store_dwordx2 v[5:6], v[0:1], off
	v_sub_f32_e32 v0, v11, v25
	v_sub_f32_e32 v8, v10, v12
	v_add_f32_e32 v10, v12, v10
	v_sub_f32_e32 v12, v15, v4
	v_add_f32_e32 v11, v21, v16
	v_add_f32_e32 v1, v24, v9
	v_sub_f32_e32 v9, v7, v2
	v_add_f32_e32 v7, v2, v7
	v_add_f32_e32 v3, v4, v15
	v_sub_f32_e32 v2, v16, v21
	global_store_dwordx2 v[5:6], v[13:14], off offset:880
	global_store_dwordx2 v[5:6], v[11:12], off offset:1760
	;; [unrolled: 1-line block ×6, first 2 shown]
.LBB0_21:
	s_endpgm
	.section	.rodata,"a",@progbits
	.p2align	6, 0x0
	.amdhsa_kernel fft_rtc_back_len770_factors_11_10_7_wgs_220_tpt_110_sp_ip_CI_unitstride_sbrr_dirReg
		.amdhsa_group_segment_fixed_size 0
		.amdhsa_private_segment_fixed_size 0
		.amdhsa_kernarg_size 88
		.amdhsa_user_sgpr_count 6
		.amdhsa_user_sgpr_private_segment_buffer 1
		.amdhsa_user_sgpr_dispatch_ptr 0
		.amdhsa_user_sgpr_queue_ptr 0
		.amdhsa_user_sgpr_kernarg_segment_ptr 1
		.amdhsa_user_sgpr_dispatch_id 0
		.amdhsa_user_sgpr_flat_scratch_init 0
		.amdhsa_user_sgpr_private_segment_size 0
		.amdhsa_wavefront_size32 1
		.amdhsa_uses_dynamic_stack 0
		.amdhsa_system_sgpr_private_segment_wavefront_offset 0
		.amdhsa_system_sgpr_workgroup_id_x 1
		.amdhsa_system_sgpr_workgroup_id_y 0
		.amdhsa_system_sgpr_workgroup_id_z 0
		.amdhsa_system_sgpr_workgroup_info 0
		.amdhsa_system_vgpr_workitem_id 0
		.amdhsa_next_free_vgpr 59
		.amdhsa_next_free_sgpr 21
		.amdhsa_reserve_vcc 1
		.amdhsa_reserve_flat_scratch 0
		.amdhsa_float_round_mode_32 0
		.amdhsa_float_round_mode_16_64 0
		.amdhsa_float_denorm_mode_32 3
		.amdhsa_float_denorm_mode_16_64 3
		.amdhsa_dx10_clamp 1
		.amdhsa_ieee_mode 1
		.amdhsa_fp16_overflow 0
		.amdhsa_workgroup_processor_mode 1
		.amdhsa_memory_ordered 1
		.amdhsa_forward_progress 0
		.amdhsa_shared_vgpr_count 0
		.amdhsa_exception_fp_ieee_invalid_op 0
		.amdhsa_exception_fp_denorm_src 0
		.amdhsa_exception_fp_ieee_div_zero 0
		.amdhsa_exception_fp_ieee_overflow 0
		.amdhsa_exception_fp_ieee_underflow 0
		.amdhsa_exception_fp_ieee_inexact 0
		.amdhsa_exception_int_div_zero 0
	.end_amdhsa_kernel
	.text
.Lfunc_end0:
	.size	fft_rtc_back_len770_factors_11_10_7_wgs_220_tpt_110_sp_ip_CI_unitstride_sbrr_dirReg, .Lfunc_end0-fft_rtc_back_len770_factors_11_10_7_wgs_220_tpt_110_sp_ip_CI_unitstride_sbrr_dirReg
                                        ; -- End function
	.section	.AMDGPU.csdata,"",@progbits
; Kernel info:
; codeLenInByte = 5856
; NumSgprs: 23
; NumVgprs: 59
; ScratchSize: 0
; MemoryBound: 0
; FloatMode: 240
; IeeeMode: 1
; LDSByteSize: 0 bytes/workgroup (compile time only)
; SGPRBlocks: 2
; VGPRBlocks: 7
; NumSGPRsForWavesPerEU: 23
; NumVGPRsForWavesPerEU: 59
; Occupancy: 16
; WaveLimiterHint : 1
; COMPUTE_PGM_RSRC2:SCRATCH_EN: 0
; COMPUTE_PGM_RSRC2:USER_SGPR: 6
; COMPUTE_PGM_RSRC2:TRAP_HANDLER: 0
; COMPUTE_PGM_RSRC2:TGID_X_EN: 1
; COMPUTE_PGM_RSRC2:TGID_Y_EN: 0
; COMPUTE_PGM_RSRC2:TGID_Z_EN: 0
; COMPUTE_PGM_RSRC2:TIDIG_COMP_CNT: 0
	.text
	.p2alignl 6, 3214868480
	.fill 48, 4, 3214868480
	.type	__hip_cuid_8dca88125c6fc5aa,@object ; @__hip_cuid_8dca88125c6fc5aa
	.section	.bss,"aw",@nobits
	.globl	__hip_cuid_8dca88125c6fc5aa
__hip_cuid_8dca88125c6fc5aa:
	.byte	0                               ; 0x0
	.size	__hip_cuid_8dca88125c6fc5aa, 1

	.ident	"AMD clang version 19.0.0git (https://github.com/RadeonOpenCompute/llvm-project roc-6.4.0 25133 c7fe45cf4b819c5991fe208aaa96edf142730f1d)"
	.section	".note.GNU-stack","",@progbits
	.addrsig
	.addrsig_sym __hip_cuid_8dca88125c6fc5aa
	.amdgpu_metadata
---
amdhsa.kernels:
  - .args:
      - .actual_access:  read_only
        .address_space:  global
        .offset:         0
        .size:           8
        .value_kind:     global_buffer
      - .offset:         8
        .size:           8
        .value_kind:     by_value
      - .actual_access:  read_only
        .address_space:  global
        .offset:         16
        .size:           8
        .value_kind:     global_buffer
      - .actual_access:  read_only
        .address_space:  global
        .offset:         24
        .size:           8
        .value_kind:     global_buffer
      - .offset:         32
        .size:           8
        .value_kind:     by_value
      - .actual_access:  read_only
        .address_space:  global
        .offset:         40
        .size:           8
        .value_kind:     global_buffer
      - .actual_access:  read_only
        .address_space:  global
        .offset:         48
        .size:           8
        .value_kind:     global_buffer
      - .offset:         56
        .size:           4
        .value_kind:     by_value
      - .actual_access:  read_only
        .address_space:  global
        .offset:         64
        .size:           8
        .value_kind:     global_buffer
      - .actual_access:  read_only
        .address_space:  global
        .offset:         72
        .size:           8
        .value_kind:     global_buffer
      - .address_space:  global
        .offset:         80
        .size:           8
        .value_kind:     global_buffer
    .group_segment_fixed_size: 0
    .kernarg_segment_align: 8
    .kernarg_segment_size: 88
    .language:       OpenCL C
    .language_version:
      - 2
      - 0
    .max_flat_workgroup_size: 220
    .name:           fft_rtc_back_len770_factors_11_10_7_wgs_220_tpt_110_sp_ip_CI_unitstride_sbrr_dirReg
    .private_segment_fixed_size: 0
    .sgpr_count:     23
    .sgpr_spill_count: 0
    .symbol:         fft_rtc_back_len770_factors_11_10_7_wgs_220_tpt_110_sp_ip_CI_unitstride_sbrr_dirReg.kd
    .uniform_work_group_size: 1
    .uses_dynamic_stack: false
    .vgpr_count:     59
    .vgpr_spill_count: 0
    .wavefront_size: 32
    .workgroup_processor_mode: 1
amdhsa.target:   amdgcn-amd-amdhsa--gfx1030
amdhsa.version:
  - 1
  - 2
...

	.end_amdgpu_metadata
